;; amdgpu-corpus repo=ROCm/rocFFT kind=compiled arch=gfx906 opt=O3
	.text
	.amdgcn_target "amdgcn-amd-amdhsa--gfx906"
	.amdhsa_code_object_version 6
	.protected	bluestein_single_back_len275_dim1_sp_op_CI_CI ; -- Begin function bluestein_single_back_len275_dim1_sp_op_CI_CI
	.globl	bluestein_single_back_len275_dim1_sp_op_CI_CI
	.p2align	8
	.type	bluestein_single_back_len275_dim1_sp_op_CI_CI,@function
bluestein_single_back_len275_dim1_sp_op_CI_CI: ; @bluestein_single_back_len275_dim1_sp_op_CI_CI
; %bb.0:
	s_load_dwordx4 s[0:3], s[4:5], 0x28
	v_mul_u32_u24_e32 v1, 0x4a8, v0
	v_add_u32_sdwa v36, s6, v1 dst_sel:DWORD dst_unused:UNUSED_PAD src0_sel:DWORD src1_sel:WORD_1
	v_mov_b32_e32 v37, 0
	s_waitcnt lgkmcnt(0)
	v_cmp_gt_u64_e32 vcc, s[0:1], v[36:37]
	s_and_saveexec_b64 s[0:1], vcc
	s_cbranch_execz .LBB0_15
; %bb.1:
	s_load_dwordx2 s[6:7], s[4:5], 0x0
	s_load_dwordx2 s[8:9], s[4:5], 0x38
	v_mov_b32_e32 v2, 55
	v_mul_lo_u16_sdwa v1, v1, v2 dst_sel:DWORD dst_unused:UNUSED_PAD src0_sel:WORD_1 src1_sel:DWORD
	v_sub_u16_e32 v40, v0, v1
	v_cmp_gt_u16_e32 vcc, 25, v40
	v_lshlrev_b32_e32 v39, 3, v40
	s_and_saveexec_b64 s[10:11], vcc
	s_cbranch_execz .LBB0_3
; %bb.2:
	s_load_dwordx2 s[0:1], s[4:5], 0x18
	s_waitcnt lgkmcnt(0)
	s_load_dwordx4 s[12:15], s[0:1], 0x0
	s_waitcnt lgkmcnt(0)
	v_mad_u64_u32 v[0:1], s[0:1], s14, v36, 0
	v_mad_u64_u32 v[2:3], s[0:1], s12, v40, 0
	;; [unrolled: 1-line block ×4, first 2 shown]
	v_mov_b32_e32 v1, v4
	v_lshlrev_b64 v[0:1], 3, v[0:1]
	v_mov_b32_e32 v3, v5
	v_mov_b32_e32 v6, s3
	v_lshlrev_b64 v[2:3], 3, v[2:3]
	v_add_co_u32_e64 v0, s[0:1], s2, v0
	v_addc_co_u32_e64 v1, s[0:1], v6, v1, s[0:1]
	v_add_co_u32_e64 v0, s[0:1], v0, v2
	v_addc_co_u32_e64 v1, s[0:1], v1, v3, s[0:1]
	s_mul_i32 s0, s13, 0xc8
	s_mul_hi_u32 s1, s12, 0xc8
	s_add_i32 s3, s1, s0
	s_mul_i32 s2, s12, 0xc8
	v_mov_b32_e32 v3, s3
	v_add_co_u32_e64 v2, s[0:1], s2, v0
	v_addc_co_u32_e64 v3, s[0:1], v1, v3, s[0:1]
	v_mov_b32_e32 v5, s3
	v_add_co_u32_e64 v4, s[0:1], s2, v2
	v_addc_co_u32_e64 v5, s[0:1], v3, v5, s[0:1]
	;; [unrolled: 3-line block ×3, first 2 shown]
	global_load_dwordx2 v[6:7], v39, s[6:7]
	global_load_dwordx2 v[8:9], v39, s[6:7] offset:200
	global_load_dwordx2 v[10:11], v39, s[6:7] offset:400
	;; [unrolled: 1-line block ×3, first 2 shown]
	v_mov_b32_e32 v24, s3
	global_load_dwordx2 v[16:17], v[0:1], off
	global_load_dwordx2 v[18:19], v[2:3], off
	;; [unrolled: 1-line block ×4, first 2 shown]
	v_add_co_u32_e64 v0, s[0:1], s2, v14
	v_addc_co_u32_e64 v1, s[0:1], v15, v24, s[0:1]
	v_mov_b32_e32 v25, s3
	global_load_dwordx2 v[2:3], v[0:1], off
	v_add_co_u32_e64 v0, s[0:1], s2, v0
	v_addc_co_u32_e64 v1, s[0:1], v1, v25, s[0:1]
	global_load_dwordx2 v[4:5], v[0:1], off
	global_load_dwordx2 v[14:15], v39, s[6:7] offset:800
	global_load_dwordx2 v[24:25], v39, s[6:7] offset:1000
	;; [unrolled: 1-line block ×4, first 2 shown]
	v_mov_b32_e32 v30, s3
	v_add_co_u32_e64 v0, s[0:1], s2, v0
	v_addc_co_u32_e64 v1, s[0:1], v1, v30, s[0:1]
	v_mov_b32_e32 v32, s3
	global_load_dwordx2 v[30:31], v[0:1], off
	v_add_co_u32_e64 v0, s[0:1], s2, v0
	v_addc_co_u32_e64 v1, s[0:1], v1, v32, s[0:1]
	v_mov_b32_e32 v33, s3
	v_add_co_u32_e64 v32, s[0:1], s2, v0
	v_addc_co_u32_e64 v33, s[0:1], v1, v33, s[0:1]
	global_load_dwordx2 v[34:35], v[0:1], off
	global_load_dwordx2 v[37:38], v[32:33], off
	v_mov_b32_e32 v1, s3
	v_add_co_u32_e64 v0, s[0:1], s2, v32
	v_addc_co_u32_e64 v1, s[0:1], v33, v1, s[0:1]
	global_load_dwordx2 v[32:33], v39, s[6:7] offset:1600
	global_load_dwordx2 v[41:42], v[0:1], off
	global_load_dwordx2 v[43:44], v39, s[6:7] offset:1800
	v_mov_b32_e32 v45, s3
	v_add_co_u32_e64 v0, s[0:1], s2, v0
	v_addc_co_u32_e64 v1, s[0:1], v1, v45, s[0:1]
	global_load_dwordx2 v[45:46], v39, s[6:7] offset:2000
	global_load_dwordx2 v[47:48], v[0:1], off
	s_waitcnt vmcnt(17)
	v_mul_f32_e32 v1, v16, v7
	v_mul_f32_e32 v0, v17, v7
	v_fma_f32 v1, v17, v6, -v1
	v_fmac_f32_e32 v0, v16, v6
	s_waitcnt vmcnt(16)
	v_mul_f32_e32 v6, v18, v9
	v_fma_f32 v7, v19, v8, -v6
	v_mul_f32_e32 v6, v19, v9
	v_fmac_f32_e32 v6, v18, v8
	ds_write2_b64 v39, v[0:1], v[6:7] offset1:25
	s_waitcnt vmcnt(15)
	v_mul_f32_e32 v0, v20, v11
	s_waitcnt vmcnt(14)
	v_mul_f32_e32 v6, v22, v13
	v_fma_f32 v1, v21, v10, -v0
	v_mul_f32_e32 v0, v21, v11
	v_fma_f32 v7, v23, v12, -v6
	v_mul_f32_e32 v6, v23, v13
	v_fmac_f32_e32 v0, v20, v10
	v_fmac_f32_e32 v6, v22, v12
	ds_write2_b64 v39, v[0:1], v[6:7] offset0:50 offset1:75
	s_waitcnt vmcnt(11)
	v_mul_f32_e32 v0, v2, v15
	v_mul_f32_e32 v8, v3, v15
	v_fma_f32 v9, v3, v14, -v0
	s_waitcnt vmcnt(10)
	v_mul_f32_e32 v0, v5, v25
	v_mul_f32_e32 v1, v4, v25
	v_fmac_f32_e32 v8, v2, v14
	v_fmac_f32_e32 v0, v4, v24
	v_fma_f32 v1, v5, v24, -v1
	ds_write2_b64 v39, v[8:9], v[0:1] offset0:100 offset1:125
	s_waitcnt vmcnt(7)
	v_mul_f32_e32 v0, v31, v27
	v_mul_f32_e32 v1, v30, v27
	v_fmac_f32_e32 v0, v30, v26
	s_waitcnt vmcnt(6)
	v_mul_f32_e32 v2, v35, v29
	v_mul_f32_e32 v3, v34, v29
	v_fma_f32 v1, v31, v26, -v1
	v_fmac_f32_e32 v2, v34, v28
	v_fma_f32 v3, v35, v28, -v3
	ds_write2_b64 v39, v[0:1], v[2:3] offset0:150 offset1:175
	s_waitcnt vmcnt(4)
	v_mul_f32_e32 v0, v38, v33
	v_mul_f32_e32 v1, v37, v33
	s_waitcnt vmcnt(2)
	v_mul_f32_e32 v2, v42, v44
	v_mul_f32_e32 v3, v41, v44
	v_fmac_f32_e32 v0, v37, v32
	v_fma_f32 v1, v38, v32, -v1
	v_fmac_f32_e32 v2, v41, v43
	v_fma_f32 v3, v42, v43, -v3
	ds_write2_b64 v39, v[0:1], v[2:3] offset0:200 offset1:225
	s_waitcnt vmcnt(0)
	v_mul_f32_e32 v0, v48, v46
	v_mul_f32_e32 v1, v47, v46
	v_fmac_f32_e32 v0, v47, v45
	v_fma_f32 v1, v48, v45, -v1
	ds_write_b64 v39, v[0:1] offset:2000
.LBB0_3:
	s_or_b64 exec, exec, s[10:11]
	s_load_dwordx2 s[0:1], s[4:5], 0x20
	s_load_dwordx2 s[10:11], s[4:5], 0x8
	v_mov_b32_e32 v12, 0
	v_mov_b32_e32 v13, 0
	s_waitcnt lgkmcnt(0)
	; wave barrier
	s_waitcnt lgkmcnt(0)
                                        ; implicit-def: $vgpr16
                                        ; implicit-def: $vgpr28
                                        ; implicit-def: $vgpr8
                                        ; implicit-def: $vgpr26
                                        ; implicit-def: $vgpr22
	s_and_saveexec_b64 s[2:3], vcc
	s_cbranch_execz .LBB0_5
; %bb.4:
	ds_read2_b64 v[12:15], v39 offset1:25
	ds_read2_b64 v[20:23], v39 offset0:50 offset1:75
	ds_read2_b64 v[24:27], v39 offset0:100 offset1:125
	;; [unrolled: 1-line block ×4, first 2 shown]
	ds_read_b64 v[8:9], v39 offset:2000
.LBB0_5:
	s_or_b64 exec, exec, s[2:3]
	s_waitcnt lgkmcnt(0)
	v_sub_f32_e32 v4, v15, v9
	v_mul_f32_e32 v32, 0xbf0a6770, v4
	v_sub_f32_e32 v5, v21, v31
	v_add_f32_e32 v43, v8, v14
	v_mov_b32_e32 v0, v32
	v_mul_f32_e32 v33, 0xbf68dda4, v5
	v_fmac_f32_e32 v0, 0x3f575c64, v43
	v_add_f32_e32 v45, v30, v20
	v_mov_b32_e32 v1, v33
	v_sub_f32_e32 v10, v14, v8
	v_add_f32_e32 v0, v0, v12
	v_fmac_f32_e32 v1, 0x3ed4b147, v45
	s_mov_b32 s2, 0x3f575c64
	v_add_f32_e32 v48, v9, v15
	v_mul_f32_e32 v34, 0xbf0a6770, v10
	v_sub_f32_e32 v11, v20, v30
	v_add_f32_e32 v0, v1, v0
	v_fma_f32 v1, v48, s2, -v34
	s_mov_b32 s3, 0x3ed4b147
	v_add_f32_e32 v47, v31, v21
	v_mul_f32_e32 v35, 0xbf68dda4, v11
	v_sub_f32_e32 v41, v23, v29
	v_add_f32_e32 v1, v1, v13
	v_fma_f32 v2, v47, s3, -v35
	v_mul_f32_e32 v42, 0xbf7d64f0, v41
	v_add_f32_e32 v1, v2, v1
	v_add_f32_e32 v50, v28, v22
	v_mov_b32_e32 v2, v42
	v_sub_f32_e32 v88, v22, v28
	v_fmac_f32_e32 v2, 0xbe11bafb, v50
	s_mov_b32 s4, 0xbe11bafb
	v_add_f32_e32 v52, v29, v23
	v_mul_f32_e32 v44, 0xbf7d64f0, v88
	v_sub_f32_e32 v89, v25, v19
	v_add_f32_e32 v0, v2, v0
	v_fma_f32 v2, v52, s4, -v44
	v_mul_f32_e32 v46, 0xbf4178ce, v89
	v_add_f32_e32 v1, v2, v1
	v_add_f32_e32 v54, v18, v24
	v_mov_b32_e32 v2, v46
	v_sub_f32_e32 v90, v24, v18
	v_fmac_f32_e32 v2, 0xbf27a4f4, v54
	s_mov_b32 s5, 0xbf27a4f4
	v_add_f32_e32 v57, v19, v25
	v_mul_f32_e32 v49, 0xbf4178ce, v90
	v_sub_f32_e32 v91, v27, v17
	v_add_f32_e32 v0, v2, v0
	v_fma_f32 v2, v57, s5, -v49
	v_mul_f32_e32 v51, 0xbe903f40, v91
	v_add_f32_e32 v1, v2, v1
	v_add_f32_e32 v66, v16, v26
	v_mov_b32_e32 v2, v51
	v_sub_f32_e32 v92, v26, v16
	s_mov_b32 s12, 0xbf75a155
	v_fmac_f32_e32 v2, 0xbf75a155, v66
	v_add_f32_e32 v67, v17, v27
	v_mul_f32_e32 v53, 0xbe903f40, v92
	v_add_f32_e32 v37, v2, v0
	v_fma_f32 v0, v67, s12, -v53
	v_mul_f32_e32 v55, 0xbf68dda4, v4
	v_add_f32_e32 v38, v0, v1
	v_mov_b32_e32 v0, v55
	v_mul_f32_e32 v56, 0xbf4178ce, v5
	v_fmac_f32_e32 v0, 0x3ed4b147, v43
	v_mov_b32_e32 v1, v56
	v_add_f32_e32 v0, v0, v12
	v_fmac_f32_e32 v1, 0xbf27a4f4, v45
	v_mul_f32_e32 v60, 0xbf68dda4, v10
	v_add_f32_e32 v0, v1, v0
	v_fma_f32 v1, v48, s3, -v60
	v_mul_f32_e32 v61, 0xbf4178ce, v11
	v_add_f32_e32 v1, v1, v13
	v_fma_f32 v2, v47, s5, -v61
	v_mul_f32_e32 v58, 0x3e903f40, v41
	v_add_f32_e32 v1, v2, v1
	v_mov_b32_e32 v2, v58
	v_fmac_f32_e32 v2, 0xbf75a155, v50
	v_mul_f32_e32 v63, 0x3e903f40, v88
	v_add_f32_e32 v0, v2, v0
	v_fma_f32 v2, v52, s12, -v63
	v_mul_f32_e32 v59, 0x3f7d64f0, v89
	v_add_f32_e32 v1, v2, v1
	v_mov_b32_e32 v2, v59
	v_fmac_f32_e32 v2, 0xbe11bafb, v54
	;; [unrolled: 7-line block ×3, first 2 shown]
	v_mul_f32_e32 v65, 0x3f0a6770, v92
	v_mul_f32_e32 v68, 0xbf7d64f0, v4
	v_fma_f32 v3, v67, s2, -v65
	v_add_f32_e32 v2, v2, v0
	v_mov_b32_e32 v0, v68
	v_mul_f32_e32 v69, 0x3e903f40, v5
	v_add_f32_e32 v3, v3, v1
	v_fmac_f32_e32 v0, 0xbe11bafb, v43
	v_mov_b32_e32 v1, v69
	v_add_f32_e32 v0, v0, v12
	v_fmac_f32_e32 v1, 0xbf75a155, v45
	v_mul_f32_e32 v70, 0x3f68dda4, v41
	v_add_f32_e32 v0, v1, v0
	v_mov_b32_e32 v1, v70
	v_fmac_f32_e32 v1, 0x3ed4b147, v50
	v_mul_f32_e32 v71, 0xbf0a6770, v89
	v_add_f32_e32 v0, v1, v0
	v_mov_b32_e32 v1, v71
	;; [unrolled: 4-line block ×3, first 2 shown]
	v_fmac_f32_e32 v1, 0xbf27a4f4, v66
	v_mul_f32_e32 v73, 0xbf7d64f0, v10
	v_add_f32_e32 v0, v1, v0
	v_fma_f32 v1, v48, s4, -v73
	v_mul_f32_e32 v74, 0x3e903f40, v11
	v_add_f32_e32 v1, v1, v13
	v_fma_f32 v6, v47, s12, -v74
	;; [unrolled: 3-line block ×5, first 2 shown]
	v_mul_f32_e32 v78, 0xbf4178ce, v4
	v_add_f32_e32 v1, v6, v1
	v_mov_b32_e32 v6, v78
	v_mul_f32_e32 v79, 0x3f7d64f0, v5
	v_fmac_f32_e32 v6, 0xbf27a4f4, v43
	v_mov_b32_e32 v7, v79
	v_add_f32_e32 v6, v6, v12
	v_fmac_f32_e32 v7, 0xbe11bafb, v45
	v_mul_f32_e32 v82, 0xbf4178ce, v10
	v_add_f32_e32 v6, v7, v6
	v_fma_f32 v7, v48, s5, -v82
	v_mul_f32_e32 v83, 0x3f7d64f0, v11
	v_add_f32_e32 v7, v7, v13
	v_fma_f32 v80, v47, s4, -v83
	v_add_f32_e32 v7, v80, v7
	v_mul_f32_e32 v80, 0xbf0a6770, v41
	v_mov_b32_e32 v81, v80
	v_fmac_f32_e32 v81, 0x3f575c64, v50
	v_mul_f32_e32 v85, 0xbf0a6770, v88
	v_add_f32_e32 v6, v81, v6
	v_fma_f32 v81, v52, s2, -v85
	v_add_f32_e32 v7, v81, v7
	v_mul_f32_e32 v81, 0xbe903f40, v89
	v_mov_b32_e32 v84, v81
	v_fmac_f32_e32 v84, 0xbf75a155, v54
	;; [unrolled: 7-line block ×3, first 2 shown]
	v_mul_f32_e32 v87, 0x3f68dda4, v92
	v_mul_f32_e32 v4, 0xbe903f40, v4
	v_fma_f32 v94, v67, s3, -v87
	v_add_f32_e32 v6, v93, v6
	v_fma_f32 v93, v43, s12, -v4
	v_mul_f32_e32 v5, 0x3f0a6770, v5
	v_add_f32_e32 v7, v94, v7
	v_add_f32_e32 v93, v93, v12
	v_fma_f32 v94, v45, s2, -v5
	v_add_f32_e32 v93, v94, v93
	v_mul_f32_e32 v94, 0xbe903f40, v10
	v_mov_b32_e32 v10, v94
	v_mul_f32_e32 v95, 0x3f0a6770, v11
	v_fmac_f32_e32 v10, 0xbf75a155, v48
	v_mov_b32_e32 v11, v95
	v_add_f32_e32 v10, v10, v13
	v_fmac_f32_e32 v11, 0x3f575c64, v47
	v_mul_f32_e32 v41, 0xbf4178ce, v41
	v_add_f32_e32 v10, v11, v10
	v_fma_f32 v11, v50, s5, -v41
	v_mul_f32_e32 v88, 0xbf4178ce, v88
	v_fmac_f32_e32 v4, 0xbf75a155, v43
	v_add_f32_e32 v11, v11, v93
	v_mov_b32_e32 v93, v88
	v_add_f32_e32 v4, v4, v12
	v_fmac_f32_e32 v5, 0x3f575c64, v45
	v_fmac_f32_e32 v93, 0xbf27a4f4, v52
	v_mul_f32_e32 v89, 0x3f68dda4, v89
	v_add_f32_e32 v4, v5, v4
	v_fmac_f32_e32 v41, 0xbf27a4f4, v50
	v_fma_f32 v5, v48, s12, -v94
	v_add_f32_e32 v10, v93, v10
	v_fma_f32 v93, v54, s3, -v89
	v_mul_f32_e32 v90, 0x3f68dda4, v90
	v_add_f32_e32 v4, v41, v4
	v_add_f32_e32 v5, v5, v13
	v_fma_f32 v41, v47, s2, -v95
	v_add_f32_e32 v11, v93, v11
	v_mov_b32_e32 v93, v90
	v_mul_f32_e32 v92, 0xbf7d64f0, v92
	v_add_f32_e32 v5, v41, v5
	v_fma_f32 v41, v52, s5, -v88
	v_fmac_f32_e32 v93, 0x3ed4b147, v57
	v_mul_f32_e32 v91, 0xbf7d64f0, v91
	v_mov_b32_e32 v96, v92
	v_fmac_f32_e32 v89, 0x3ed4b147, v54
	v_add_f32_e32 v5, v41, v5
	v_fma_f32 v41, v57, s3, -v90
	v_add_f32_e32 v93, v93, v10
	v_fmac_f32_e32 v96, 0xbe11bafb, v67
	v_fma_f32 v10, v66, s4, -v91
	v_add_f32_e32 v4, v89, v4
	v_fmac_f32_e32 v91, 0xbe11bafb, v66
	v_add_f32_e32 v5, v41, v5
	v_fma_f32 v41, v67, s4, -v92
	v_add_f32_e32 v10, v10, v11
	v_add_f32_e32 v11, v96, v93
	;; [unrolled: 1-line block ×4, first 2 shown]
	v_mul_lo_u16_e32 v41, 11, v40
	s_waitcnt lgkmcnt(0)
	; wave barrier
	s_and_saveexec_b64 s[2:3], vcc
	s_cbranch_execz .LBB0_7
; %bb.6:
	v_mul_f32_e32 v88, 0x3f575c64, v43
	v_mul_f32_e32 v89, 0x3f575c64, v48
	v_mul_f32_e32 v90, 0x3ed4b147, v43
	v_mul_f32_e32 v91, 0x3ed4b147, v48
	v_mul_f32_e32 v92, 0xbe11bafb, v43
	v_mul_f32_e32 v93, 0xbe11bafb, v48
	v_mul_f32_e32 v43, 0xbf27a4f4, v43
	v_mul_f32_e32 v48, 0xbf27a4f4, v48
	v_mul_f32_e32 v94, 0x3ed4b147, v45
	v_mul_f32_e32 v95, 0x3ed4b147, v47
	v_mul_f32_e32 v96, 0xbf27a4f4, v45
	v_mul_f32_e32 v97, 0xbf27a4f4, v47
	v_mul_f32_e32 v98, 0xbf75a155, v45
	v_mul_f32_e32 v99, 0xbf75a155, v47
	v_mul_f32_e32 v45, 0xbe11bafb, v45
	v_mul_f32_e32 v47, 0xbe11bafb, v47
	v_add_f32_e32 v48, v82, v48
	v_sub_f32_e32 v43, v43, v78
	v_mul_f32_e32 v100, 0xbe11bafb, v50
	v_mul_f32_e32 v101, 0xbe11bafb, v52
	v_mul_f32_e32 v102, 0xbf75a155, v50
	v_mul_f32_e32 v103, 0xbf75a155, v52
	v_mul_f32_e32 v104, 0x3ed4b147, v50
	v_mul_f32_e32 v105, 0x3ed4b147, v52
	v_mul_f32_e32 v50, 0x3f575c64, v50
	v_mul_f32_e32 v52, 0x3f575c64, v52
	v_add_f32_e32 v48, v48, v13
	v_add_f32_e32 v47, v83, v47
	v_add_f32_e32 v43, v43, v12
	v_sub_f32_e32 v45, v45, v79
	v_mul_f32_e32 v106, 0xbf27a4f4, v54
	v_mul_f32_e32 v107, 0xbf27a4f4, v57
	v_mul_f32_e32 v108, 0xbe11bafb, v54
	v_mul_f32_e32 v109, 0xbe11bafb, v57
	v_mul_f32_e32 v110, 0x3f575c64, v54
	v_mul_f32_e32 v111, 0x3f575c64, v57
	v_mul_f32_e32 v54, 0xbf75a155, v54
	v_mul_f32_e32 v57, 0xbf75a155, v57
	v_add_f32_e32 v47, v47, v48
	v_add_f32_e32 v48, v85, v52
	;; [unrolled: 12-line block ×3, first 2 shown]
	v_add_f32_e32 v43, v45, v43
	v_sub_f32_e32 v45, v54, v81
	v_add_f32_e32 v47, v48, v47
	v_add_f32_e32 v48, v87, v67
	;; [unrolled: 1-line block ×3, first 2 shown]
	v_sub_f32_e32 v45, v66, v84
	v_add_f32_e32 v48, v48, v47
	v_add_f32_e32 v47, v45, v43
	;; [unrolled: 1-line block ×12, first 2 shown]
	v_sub_f32_e32 v43, v92, v68
	v_add_f32_e32 v43, v43, v12
	v_sub_f32_e32 v45, v98, v69
	v_add_f32_e32 v43, v45, v43
	;; [unrolled: 2-line block ×5, first 2 shown]
	v_add_f32_e32 v43, v60, v91
	v_add_f32_e32 v43, v43, v13
	;; [unrolled: 1-line block ×10, first 2 shown]
	v_sub_f32_e32 v43, v90, v55
	v_add_f32_e32 v34, v34, v89
	v_sub_f32_e32 v32, v88, v32
	v_add_f32_e32 v43, v43, v12
	v_add_f32_e32 v34, v34, v13
	;; [unrolled: 1-line block ×14, first 2 shown]
	v_sub_f32_e32 v33, v94, v33
	v_add_f32_e32 v13, v17, v13
	v_add_f32_e32 v12, v16, v12
	v_sub_f32_e32 v45, v96, v56
	v_add_f32_e32 v34, v35, v34
	v_add_f32_e32 v35, v44, v101
	v_add_f32_e32 v32, v33, v32
	v_sub_f32_e32 v33, v100, v42
	v_add_f32_e32 v13, v19, v13
	;; [unrolled: 4-line block ×7, first 2 shown]
	v_add_f32_e32 v33, v33, v32
	v_add_f32_e32 v9, v9, v13
	v_add_f32_e32 v8, v8, v12
	v_lshlrev_b32_e32 v12, 3, v41
	v_add_f32_e32 v56, v45, v43
	ds_write2_b64 v12, v[8:9], v[33:34] offset1:1
	ds_write2_b64 v12, v[56:57], v[66:67] offset0:2 offset1:3
	ds_write2_b64 v12, v[47:48], v[10:11] offset0:4 offset1:5
	;; [unrolled: 1-line block ×4, first 2 shown]
	ds_write_b64 v12, v[37:38] offset:80
.LBB0_7:
	s_or_b64 exec, exec, s[2:3]
	s_movk_i32 s4, 0x75
	v_mul_lo_u16_sdwa v8, v40, s4 dst_sel:DWORD dst_unused:UNUSED_PAD src0_sel:BYTE_0 src1_sel:DWORD
	v_sub_u16_sdwa v9, v40, v8 dst_sel:DWORD dst_unused:UNUSED_PAD src0_sel:DWORD src1_sel:BYTE_1
	v_lshrrev_b16_e32 v9, 1, v9
	v_and_b32_e32 v9, 0x7f, v9
	v_add_u16_sdwa v8, v9, v8 dst_sel:DWORD dst_unused:UNUSED_PAD src0_sel:DWORD src1_sel:BYTE_1
	v_lshrrev_b16_e32 v28, 3, v8
	v_mul_lo_u16_e32 v8, 11, v28
	v_sub_u16_e32 v8, v40, v8
	v_and_b32_e32 v29, 0xff, v8
	v_lshlrev_b32_e32 v8, 5, v29
	s_load_dwordx4 s[0:3], s[0:1], 0x0
	s_waitcnt lgkmcnt(0)
	; wave barrier
	s_waitcnt lgkmcnt(0)
	global_load_dwordx4 v[16:19], v8, s[10:11]
	global_load_dwordx4 v[12:15], v8, s[10:11] offset:16
	ds_read2_b64 v[20:23], v39 offset1:55
	ds_read2_b64 v[24:27], v39 offset0:110 offset1:165
	ds_read_b64 v[8:9], v39 offset:1760
	v_mul_u32_u24_e32 v28, 55, v28
	v_add_lshl_u32 v42, v28, v29, 3
	s_waitcnt lgkmcnt(0)
	; wave barrier
	s_waitcnt vmcnt(1) lgkmcnt(0)
	v_mul_f32_e32 v28, v23, v17
	v_mul_f32_e32 v29, v22, v17
	v_mul_f32_e32 v30, v25, v19
	v_mul_f32_e32 v31, v24, v19
	s_waitcnt vmcnt(0)
	v_mul_f32_e32 v32, v27, v13
	v_mul_f32_e32 v33, v26, v13
	;; [unrolled: 1-line block ×4, first 2 shown]
	v_fma_f32 v22, v22, v16, -v28
	v_fmac_f32_e32 v29, v23, v16
	v_fma_f32 v23, v24, v18, -v30
	v_fmac_f32_e32 v31, v25, v18
	;; [unrolled: 2-line block ×4, first 2 shown]
	v_add_f32_e32 v8, v20, v22
	v_add_f32_e32 v9, v23, v24
	v_add_f32_e32 v45, v31, v33
	v_sub_f32_e32 v25, v22, v23
	v_sub_f32_e32 v27, v26, v24
	v_add_f32_e32 v32, v22, v26
	v_sub_f32_e32 v34, v23, v22
	v_add_f32_e32 v44, v21, v29
	v_sub_f32_e32 v46, v22, v26
	v_sub_f32_e32 v47, v23, v24
	;; [unrolled: 1-line block ×4, first 2 shown]
	v_add_f32_e32 v49, v29, v35
	v_add_f32_e32 v23, v8, v23
	v_fma_f32 v8, -0.5, v9, v20
	v_fma_f32 v9, -0.5, v45, v21
	v_sub_f32_e32 v28, v29, v35
	v_sub_f32_e32 v30, v31, v33
	;; [unrolled: 1-line block ×3, first 2 shown]
	v_add_f32_e32 v51, v25, v27
	v_fma_f32 v20, -0.5, v32, v20
	v_add_f32_e32 v25, v44, v31
	v_add_f32_e32 v31, v22, v48
	v_fma_f32 v21, -0.5, v49, v21
	v_add_f32_e32 v27, v23, v24
	v_mov_b32_e32 v22, v8
	v_mov_b32_e32 v23, v9
	v_sub_f32_e32 v43, v24, v26
	v_sub_f32_e32 v50, v33, v35
	v_fmac_f32_e32 v8, 0xbf737871, v28
	v_mov_b32_e32 v24, v20
	v_add_f32_e32 v33, v25, v33
	v_mov_b32_e32 v25, v21
	v_fmac_f32_e32 v22, 0x3f737871, v28
	v_fmac_f32_e32 v23, 0xbf737871, v46
	;; [unrolled: 1-line block ×10, first 2 shown]
	v_add_f32_e32 v32, v34, v43
	v_add_f32_e32 v29, v29, v50
	;; [unrolled: 1-line block ×3, first 2 shown]
	v_fmac_f32_e32 v20, 0xbf167918, v28
	v_add_f32_e32 v27, v33, v35
	v_fmac_f32_e32 v9, 0x3f167918, v47
	v_fmac_f32_e32 v21, 0x3f167918, v46
	;; [unrolled: 1-line block ×12, first 2 shown]
	ds_write2_b64 v42, v[26:27], v[22:23] offset1:11
	ds_write2_b64 v42, v[24:25], v[20:21] offset0:22 offset1:33
	ds_write_b64 v42, v[8:9] offset:352
	v_lshlrev_b32_e32 v8, 5, v40
	s_waitcnt lgkmcnt(0)
	; wave barrier
	s_waitcnt lgkmcnt(0)
	global_load_dwordx4 v[24:27], v8, s[10:11] offset:352
	global_load_dwordx4 v[20:23], v8, s[10:11] offset:368
	ds_read2_b64 v[28:31], v39 offset1:55
	ds_read2_b64 v[32:35], v39 offset0:110 offset1:165
	ds_read_b64 v[8:9], v39 offset:1760
	s_waitcnt vmcnt(1) lgkmcnt(2)
	v_mul_f32_e32 v43, v31, v25
	v_mul_f32_e32 v44, v30, v25
	s_waitcnt lgkmcnt(1)
	v_mul_f32_e32 v45, v33, v27
	v_mul_f32_e32 v46, v32, v27
	s_waitcnt vmcnt(0)
	v_mul_f32_e32 v47, v35, v21
	v_mul_f32_e32 v48, v34, v21
	s_waitcnt lgkmcnt(0)
	v_mul_f32_e32 v49, v9, v23
	v_mul_f32_e32 v50, v8, v23
	v_fma_f32 v30, v30, v24, -v43
	v_fmac_f32_e32 v44, v31, v24
	v_fma_f32 v31, v32, v26, -v45
	v_fmac_f32_e32 v46, v33, v26
	;; [unrolled: 2-line block ×4, first 2 shown]
	v_add_f32_e32 v8, v28, v30
	v_add_f32_e32 v9, v31, v32
	v_sub_f32_e32 v33, v30, v31
	v_sub_f32_e32 v34, v43, v32
	v_add_f32_e32 v35, v30, v43
	v_add_f32_e32 v53, v46, v48
	;; [unrolled: 1-line block ×3, first 2 shown]
	v_sub_f32_e32 v49, v31, v30
	v_add_f32_e32 v52, v29, v44
	v_sub_f32_e32 v54, v30, v43
	v_sub_f32_e32 v55, v31, v32
	v_sub_f32_e32 v30, v44, v46
	v_sub_f32_e32 v56, v50, v48
	v_add_f32_e32 v31, v8, v31
	v_fma_f32 v8, -0.5, v9, v28
	v_add_f32_e32 v59, v33, v34
	v_fma_f32 v34, -0.5, v35, v28
	v_fma_f32 v9, -0.5, v53, v29
	;; [unrolled: 1-line block ×3, first 2 shown]
	v_sub_f32_e32 v45, v44, v50
	v_sub_f32_e32 v47, v46, v48
	;; [unrolled: 1-line block ×4, first 2 shown]
	v_add_f32_e32 v28, v52, v46
	v_add_f32_e32 v46, v30, v56
	;; [unrolled: 1-line block ×3, first 2 shown]
	v_mov_b32_e32 v30, v8
	v_mov_b32_e32 v32, v34
	;; [unrolled: 1-line block ×4, first 2 shown]
	v_sub_f32_e32 v58, v48, v50
	v_fmac_f32_e32 v8, 0xbf737871, v45
	v_fmac_f32_e32 v34, 0x3f737871, v47
	;; [unrolled: 1-line block ×8, first 2 shown]
	v_add_f32_e32 v49, v49, v51
	v_add_f32_e32 v44, v44, v58
	;; [unrolled: 1-line block ×3, first 2 shown]
	v_fmac_f32_e32 v8, 0xbf167918, v47
	v_fmac_f32_e32 v34, 0xbf167918, v45
	;; [unrolled: 1-line block ×8, first 2 shown]
	v_add_f32_e32 v28, v29, v43
	v_add_f32_e32 v29, v48, v50
	v_fmac_f32_e32 v8, 0x3e9e377a, v59
	v_fmac_f32_e32 v34, 0x3e9e377a, v49
	;; [unrolled: 1-line block ×8, first 2 shown]
	ds_write2_b64 v39, v[28:29], v[30:31] offset1:55
	ds_write2_b64 v39, v[32:33], v[34:35] offset0:110 offset1:165
	ds_write_b64 v39, v[8:9] offset:1760
	s_waitcnt lgkmcnt(0)
	; wave barrier
	s_waitcnt lgkmcnt(0)
	s_and_saveexec_b64 s[4:5], vcc
	s_cbranch_execz .LBB0_9
; %bb.8:
	global_load_dwordx2 v[43:44], v39, s[6:7] offset:2200
	s_add_u32 s10, s6, 0x898
	s_addc_u32 s11, s7, 0
	global_load_dwordx2 v[63:64], v39, s[10:11] offset:200
	global_load_dwordx2 v[65:66], v39, s[10:11] offset:400
	;; [unrolled: 1-line block ×10, first 2 shown]
	ds_read_b64 v[45:46], v39
	s_waitcnt vmcnt(10) lgkmcnt(0)
	v_mul_f32_e32 v47, v46, v44
	v_mul_f32_e32 v48, v45, v44
	v_fma_f32 v47, v45, v43, -v47
	v_fmac_f32_e32 v48, v46, v43
	ds_write_b64 v39, v[47:48]
	ds_read2_b64 v[43:46], v39 offset0:25 offset1:50
	ds_read2_b64 v[47:50], v39 offset0:75 offset1:100
	ds_read2_b64 v[51:54], v39 offset0:125 offset1:150
	ds_read2_b64 v[55:58], v39 offset0:175 offset1:200
	ds_read2_b64 v[59:62], v39 offset0:225 offset1:250
	s_waitcnt vmcnt(9) lgkmcnt(4)
	v_mul_f32_e32 v84, v44, v64
	v_mul_f32_e32 v83, v43, v64
	s_waitcnt vmcnt(8)
	v_mul_f32_e32 v85, v46, v66
	v_mul_f32_e32 v64, v45, v66
	s_waitcnt vmcnt(7) lgkmcnt(3)
	v_mul_f32_e32 v86, v48, v68
	v_mul_f32_e32 v66, v47, v68
	s_waitcnt vmcnt(6)
	v_mul_f32_e32 v87, v50, v70
	v_mul_f32_e32 v68, v49, v70
	;; [unrolled: 6-line block ×5, first 2 shown]
	v_fma_f32 v82, v43, v63, -v84
	v_fmac_f32_e32 v83, v44, v63
	v_fma_f32 v63, v45, v65, -v85
	v_fmac_f32_e32 v64, v46, v65
	;; [unrolled: 2-line block ×10, first 2 shown]
	ds_write2_b64 v39, v[82:83], v[63:64] offset0:25 offset1:50
	ds_write2_b64 v39, v[65:66], v[67:68] offset0:75 offset1:100
	;; [unrolled: 1-line block ×5, first 2 shown]
.LBB0_9:
	s_or_b64 exec, exec, s[4:5]
	s_waitcnt lgkmcnt(0)
	; wave barrier
	s_waitcnt lgkmcnt(0)
	s_and_saveexec_b64 s[4:5], vcc
	s_cbranch_execz .LBB0_11
; %bb.10:
	ds_read2_b64 v[28:31], v39 offset1:25
	ds_read2_b64 v[32:35], v39 offset0:50 offset1:75
	ds_read2_b64 v[8:11], v39 offset0:100 offset1:125
	;; [unrolled: 1-line block ×4, first 2 shown]
	ds_read_b64 v[37:38], v39 offset:2000
.LBB0_11:
	s_or_b64 exec, exec, s[4:5]
	s_waitcnt lgkmcnt(0)
	; wave barrier
	s_waitcnt lgkmcnt(0)
	s_and_saveexec_b64 s[4:5], vcc
	s_cbranch_execz .LBB0_13
; %bb.12:
	v_add_f32_e32 v51, v38, v31
	v_mul_f32_e32 v53, 0xbf75a155, v51
	v_add_f32_e32 v52, v3, v33
	v_sub_f32_e32 v54, v30, v37
	v_mov_b32_e32 v43, v53
	v_mul_f32_e32 v55, 0x3f575c64, v52
	v_fmac_f32_e32 v43, 0x3e903f40, v54
	v_sub_f32_e32 v56, v32, v2
	v_mov_b32_e32 v44, v55
	v_add_f32_e32 v57, v1, v35
	v_add_f32_e32 v43, v29, v43
	v_fmac_f32_e32 v44, 0xbf0a6770, v56
	v_mul_f32_e32 v58, 0xbf27a4f4, v57
	v_add_f32_e32 v43, v44, v43
	v_sub_f32_e32 v59, v34, v0
	v_mov_b32_e32 v44, v58
	v_add_f32_e32 v60, v7, v9
	v_fmac_f32_e32 v44, 0x3f4178ce, v59
	v_mul_f32_e32 v61, 0x3ed4b147, v60
	v_add_f32_e32 v43, v44, v43
	v_sub_f32_e32 v62, v8, v6
	v_mov_b32_e32 v44, v61
	;; [unrolled: 6-line block ×3, first 2 shown]
	v_sub_f32_e32 v67, v31, v38
	v_fmac_f32_e32 v44, 0x3f7d64f0, v65
	v_mul_f32_e32 v68, 0xbe903f40, v67
	v_sub_f32_e32 v70, v33, v3
	v_add_f32_e32 v44, v44, v43
	v_add_f32_e32 v66, v37, v30
	v_mov_b32_e32 v43, v68
	v_mul_f32_e32 v71, 0x3f0a6770, v70
	v_fmac_f32_e32 v43, 0xbf75a155, v66
	v_add_f32_e32 v69, v2, v32
	v_mov_b32_e32 v45, v71
	v_sub_f32_e32 v73, v35, v1
	v_add_f32_e32 v43, v28, v43
	v_fmac_f32_e32 v45, 0x3f575c64, v69
	v_mul_f32_e32 v74, 0xbf4178ce, v73
	v_add_f32_e32 v43, v45, v43
	v_add_f32_e32 v72, v0, v34
	v_mov_b32_e32 v45, v74
	v_sub_f32_e32 v76, v9, v7
	v_fmac_f32_e32 v45, 0xbf27a4f4, v72
	v_mul_f32_e32 v77, 0x3f68dda4, v76
	v_add_f32_e32 v43, v45, v43
	v_add_f32_e32 v75, v6, v8
	v_mov_b32_e32 v45, v77
	v_sub_f32_e32 v79, v11, v5
	v_fmac_f32_e32 v45, 0x3ed4b147, v75
	v_mul_f32_e32 v80, 0xbf7d64f0, v79
	v_add_f32_e32 v43, v45, v43
	v_add_f32_e32 v78, v4, v10
	v_mov_b32_e32 v45, v80
	v_fmac_f32_e32 v45, 0xbe11bafb, v78
	v_mul_f32_e32 v81, 0xbf27a4f4, v51
	v_add_f32_e32 v43, v45, v43
	v_mov_b32_e32 v45, v81
	v_mul_f32_e32 v82, 0xbe11bafb, v52
	v_fmac_f32_e32 v45, 0x3f4178ce, v54
	v_mov_b32_e32 v46, v82
	v_add_f32_e32 v45, v29, v45
	v_fmac_f32_e32 v46, 0xbf7d64f0, v56
	v_mul_f32_e32 v83, 0x3f575c64, v57
	v_add_f32_e32 v45, v46, v45
	v_mov_b32_e32 v46, v83
	v_fmac_f32_e32 v46, 0x3f0a6770, v59
	v_mul_f32_e32 v84, 0xbf75a155, v60
	v_add_f32_e32 v45, v46, v45
	v_mov_b32_e32 v46, v84
	;; [unrolled: 4-line block ×4, first 2 shown]
	v_mul_f32_e32 v87, 0x3f7d64f0, v70
	v_fmac_f32_e32 v45, 0xbf27a4f4, v66
	v_mov_b32_e32 v47, v87
	v_add_f32_e32 v45, v28, v45
	v_fmac_f32_e32 v47, 0xbe11bafb, v69
	v_mul_f32_e32 v88, 0xbf0a6770, v73
	v_add_f32_e32 v45, v47, v45
	v_mov_b32_e32 v47, v88
	v_fmac_f32_e32 v47, 0x3f575c64, v72
	v_mul_f32_e32 v89, 0xbe903f40, v76
	v_add_f32_e32 v45, v47, v45
	v_mov_b32_e32 v47, v89
	v_fmac_f32_e32 v47, 0xbf75a155, v75
	v_mul_f32_e32 v90, 0x3f68dda4, v79
	v_add_f32_e32 v31, v31, v29
	v_add_f32_e32 v45, v47, v45
	v_mov_b32_e32 v47, v90
	v_add_f32_e32 v31, v33, v31
	v_fmac_f32_e32 v47, 0x3ed4b147, v78
	v_mul_f32_e32 v91, 0xbe11bafb, v51
	v_add_f32_e32 v31, v35, v31
	v_add_f32_e32 v45, v47, v45
	v_mov_b32_e32 v47, v91
	v_mul_f32_e32 v92, 0xbf75a155, v52
	v_add_f32_e32 v9, v9, v31
	v_fmac_f32_e32 v47, 0x3f7d64f0, v54
	v_mov_b32_e32 v48, v92
	v_add_f32_e32 v9, v11, v9
	v_add_f32_e32 v47, v29, v47
	v_fmac_f32_e32 v48, 0xbe903f40, v56
	v_mul_f32_e32 v93, 0x3ed4b147, v57
	v_add_f32_e32 v5, v5, v9
	v_add_f32_e32 v47, v48, v47
	v_mov_b32_e32 v48, v93
	v_add_f32_e32 v5, v7, v5
	v_fmac_f32_e32 v48, 0xbf68dda4, v59
	v_mul_f32_e32 v94, 0x3f575c64, v60
	v_add_f32_e32 v1, v1, v5
	v_add_f32_e32 v47, v48, v47
	v_mov_b32_e32 v48, v94
	v_add_f32_e32 v1, v3, v1
	v_add_f32_e32 v3, v30, v28
	v_fmac_f32_e32 v48, 0x3f0a6770, v62
	v_mul_f32_e32 v95, 0xbf27a4f4, v63
	v_add_f32_e32 v3, v32, v3
	v_add_f32_e32 v47, v48, v47
	v_mov_b32_e32 v48, v95
	v_add_f32_e32 v3, v34, v3
	v_fmac_f32_e32 v48, 0x3f4178ce, v65
	v_mul_f32_e32 v96, 0xbf7d64f0, v67
	v_add_f32_e32 v3, v8, v3
	v_add_f32_e32 v48, v48, v47
	v_mov_b32_e32 v47, v96
	v_mul_f32_e32 v97, 0x3e903f40, v70
	v_add_f32_e32 v3, v10, v3
	v_fmac_f32_e32 v47, 0xbe11bafb, v66
	v_mov_b32_e32 v49, v97
	v_add_f32_e32 v3, v4, v3
	v_add_f32_e32 v47, v28, v47
	v_fmac_f32_e32 v49, 0xbf75a155, v69
	v_mul_f32_e32 v98, 0x3f68dda4, v73
	v_add_f32_e32 v3, v6, v3
	v_add_f32_e32 v47, v49, v47
	v_mov_b32_e32 v49, v98
	v_add_f32_e32 v0, v0, v3
	v_fmac_f32_e32 v53, 0xbe903f40, v54
	v_fmac_f32_e32 v49, 0x3ed4b147, v72
	v_mul_f32_e32 v99, 0xbf0a6770, v76
	v_add_f32_e32 v0, v2, v0
	v_add_f32_e32 v2, v29, v53
	v_fmac_f32_e32 v55, 0x3f0a6770, v56
	v_add_f32_e32 v47, v49, v47
	v_mov_b32_e32 v49, v99
	v_add_f32_e32 v2, v55, v2
	v_fmac_f32_e32 v58, 0xbf4178ce, v59
	v_fmac_f32_e32 v49, 0x3f575c64, v75
	v_mul_f32_e32 v100, 0xbf4178ce, v79
	v_add_f32_e32 v2, v58, v2
	v_fmac_f32_e32 v61, 0x3f68dda4, v62
	s_mov_b32 s10, 0xbf75a155
	v_add_f32_e32 v47, v49, v47
	v_mov_b32_e32 v49, v100
	v_add_f32_e32 v2, v61, v2
	v_fmac_f32_e32 v64, 0xbf7d64f0, v65
	s_mov_b32 s11, 0x3f575c64
	v_fmac_f32_e32 v49, 0xbf27a4f4, v78
	v_mul_f32_e32 v101, 0x3ed4b147, v51
	v_add_f32_e32 v3, v64, v2
	v_fma_f32 v2, v66, s10, -v68
	s_mov_b32 s12, 0xbf27a4f4
	v_add_f32_e32 v47, v49, v47
	v_mov_b32_e32 v49, v101
	v_mul_f32_e32 v102, 0xbf27a4f4, v52
	v_add_f32_e32 v2, v28, v2
	v_fma_f32 v4, v69, s11, -v71
	s_mov_b32 s13, 0x3ed4b147
	v_fmac_f32_e32 v49, 0x3f68dda4, v54
	v_mov_b32_e32 v50, v102
	v_add_f32_e32 v2, v4, v2
	v_fma_f32 v4, v72, s12, -v74
	s_mov_b32 s14, 0xbe11bafb
	v_add_f32_e32 v49, v29, v49
	v_fmac_f32_e32 v50, 0x3f4178ce, v56
	v_mul_f32_e32 v103, 0xbf75a155, v57
	v_add_f32_e32 v2, v4, v2
	v_fma_f32 v4, v75, s13, -v77
	v_add_f32_e32 v49, v50, v49
	v_mov_b32_e32 v50, v103
	v_add_f32_e32 v2, v4, v2
	v_fma_f32 v4, v78, s14, -v80
	v_fmac_f32_e32 v81, 0xbf4178ce, v54
	v_fmac_f32_e32 v50, 0xbe903f40, v59
	v_mul_f32_e32 v104, 0xbe11bafb, v60
	v_add_f32_e32 v2, v4, v2
	v_add_f32_e32 v4, v29, v81
	v_fmac_f32_e32 v82, 0x3f7d64f0, v56
	v_add_f32_e32 v49, v50, v49
	v_mov_b32_e32 v50, v104
	v_add_f32_e32 v4, v82, v4
	v_fmac_f32_e32 v83, 0xbf0a6770, v59
	v_fmac_f32_e32 v50, 0xbf7d64f0, v62
	v_mul_f32_e32 v105, 0x3f575c64, v63
	v_add_f32_e32 v4, v83, v4
	v_fmac_f32_e32 v84, 0xbe903f40, v62
	v_add_f32_e32 v49, v50, v49
	v_mov_b32_e32 v50, v105
	v_add_f32_e32 v4, v84, v4
	v_fmac_f32_e32 v85, 0x3f68dda4, v65
	v_fmac_f32_e32 v50, 0xbf0a6770, v65
	v_mul_f32_e32 v106, 0xbf68dda4, v67
	v_add_f32_e32 v5, v85, v4
	v_fma_f32 v4, v66, s12, -v86
	v_add_f32_e32 v50, v50, v49
	v_mov_b32_e32 v49, v106
	v_mul_f32_e32 v107, 0xbf4178ce, v70
	v_add_f32_e32 v4, v28, v4
	v_fma_f32 v6, v69, s14, -v87
	v_fmac_f32_e32 v49, 0x3ed4b147, v66
	v_mov_b32_e32 v108, v107
	v_add_f32_e32 v4, v6, v4
	v_fma_f32 v6, v72, s11, -v88
	v_add_f32_e32 v49, v28, v49
	v_fmac_f32_e32 v108, 0xbf27a4f4, v69
	v_add_f32_e32 v4, v6, v4
	v_fma_f32 v6, v75, s10, -v89
	v_add_f32_e32 v49, v108, v49
	v_mul_f32_e32 v108, 0x3e903f40, v73
	v_add_f32_e32 v4, v6, v4
	v_fma_f32 v6, v78, s13, -v90
	v_fmac_f32_e32 v91, 0xbf7d64f0, v54
	v_mov_b32_e32 v109, v108
	v_add_f32_e32 v4, v6, v4
	v_add_f32_e32 v6, v29, v91
	v_fmac_f32_e32 v92, 0x3e903f40, v56
	v_fmac_f32_e32 v109, 0xbf75a155, v72
	v_add_f32_e32 v6, v92, v6
	v_fmac_f32_e32 v93, 0x3f68dda4, v59
	v_add_f32_e32 v49, v109, v49
	v_mul_f32_e32 v109, 0x3f7d64f0, v76
	v_add_f32_e32 v6, v93, v6
	v_fmac_f32_e32 v94, 0xbf0a6770, v62
	v_mov_b32_e32 v110, v109
	v_add_f32_e32 v6, v94, v6
	v_fmac_f32_e32 v95, 0xbf4178ce, v65
	v_fmac_f32_e32 v110, 0xbe11bafb, v75
	v_add_f32_e32 v7, v95, v6
	v_fma_f32 v6, v66, s14, -v96
	v_add_f32_e32 v49, v110, v49
	v_mul_f32_e32 v110, 0x3f0a6770, v79
	v_add_f32_e32 v6, v28, v6
	v_fma_f32 v8, v69, s10, -v97
	v_mov_b32_e32 v111, v110
	v_add_f32_e32 v6, v8, v6
	v_fma_f32 v8, v72, s13, -v98
	v_fmac_f32_e32 v111, 0x3f575c64, v78
	v_add_f32_e32 v6, v8, v6
	v_fma_f32 v8, v75, s11, -v99
	v_add_f32_e32 v49, v111, v49
	v_mul_f32_e32 v111, 0x3f575c64, v51
	v_add_f32_e32 v6, v8, v6
	v_fma_f32 v8, v78, s12, -v100
	v_fmac_f32_e32 v101, 0xbf68dda4, v54
	v_mov_b32_e32 v51, v111
	v_mul_f32_e32 v112, 0x3ed4b147, v52
	v_add_f32_e32 v6, v8, v6
	v_add_f32_e32 v8, v29, v101
	v_fmac_f32_e32 v102, 0xbf4178ce, v56
	v_fmac_f32_e32 v51, 0x3f0a6770, v54
	v_mov_b32_e32 v52, v112
	v_add_f32_e32 v8, v102, v8
	v_fmac_f32_e32 v103, 0x3e903f40, v59
	v_add_f32_e32 v51, v29, v51
	v_fmac_f32_e32 v52, 0x3f68dda4, v56
	v_mul_f32_e32 v57, 0xbe11bafb, v57
	v_add_f32_e32 v8, v103, v8
	v_fmac_f32_e32 v104, 0x3f7d64f0, v62
	v_add_f32_e32 v51, v52, v51
	v_mov_b32_e32 v52, v57
	v_add_f32_e32 v8, v104, v8
	v_fmac_f32_e32 v105, 0x3f0a6770, v65
	v_fmac_f32_e32 v52, 0x3f7d64f0, v59
	v_mul_f32_e32 v60, 0xbf27a4f4, v60
	v_add_f32_e32 v9, v105, v8
	v_fma_f32 v8, v66, s13, -v106
	v_add_f32_e32 v51, v52, v51
	v_mov_b32_e32 v52, v60
	v_add_f32_e32 v8, v28, v8
	v_fma_f32 v10, v69, s12, -v107
	v_fmac_f32_e32 v52, 0x3f4178ce, v62
	v_mul_f32_e32 v63, 0xbf75a155, v63
	v_add_f32_e32 v8, v10, v8
	v_fma_f32 v10, v72, s10, -v108
	v_add_f32_e32 v51, v52, v51
	v_mov_b32_e32 v52, v63
	v_add_f32_e32 v8, v10, v8
	v_fma_f32 v10, v75, s14, -v109
	v_fmac_f32_e32 v52, 0x3e903f40, v65
	v_mul_f32_e32 v67, 0xbf0a6770, v67
	v_add_f32_e32 v8, v10, v8
	v_fma_f32 v10, v78, s11, -v110
	v_fmac_f32_e32 v111, 0xbf0a6770, v54
	v_add_f32_e32 v52, v52, v51
	v_mov_b32_e32 v51, v67
	v_mul_f32_e32 v70, 0xbf68dda4, v70
	v_add_f32_e32 v8, v10, v8
	v_add_f32_e32 v10, v29, v111
	v_fmac_f32_e32 v112, 0xbf68dda4, v56
	v_fmac_f32_e32 v51, 0x3f575c64, v66
	v_mov_b32_e32 v113, v70
	v_add_f32_e32 v10, v112, v10
	v_fmac_f32_e32 v57, 0xbf7d64f0, v59
	v_add_f32_e32 v51, v28, v51
	v_fmac_f32_e32 v113, 0x3ed4b147, v69
	v_mul_f32_e32 v73, 0xbf7d64f0, v73
	v_add_f32_e32 v10, v57, v10
	v_fmac_f32_e32 v60, 0xbf4178ce, v62
	v_add_f32_e32 v51, v113, v51
	v_mov_b32_e32 v113, v73
	v_add_f32_e32 v10, v60, v10
	v_fmac_f32_e32 v63, 0xbe903f40, v65
	v_fmac_f32_e32 v113, 0xbe11bafb, v72
	v_mul_f32_e32 v76, 0xbf4178ce, v76
	v_add_f32_e32 v11, v63, v10
	v_fma_f32 v10, v66, s11, -v67
	v_add_f32_e32 v51, v113, v51
	v_mov_b32_e32 v113, v76
	v_add_f32_e32 v10, v28, v10
	v_fma_f32 v28, v69, s13, -v70
	v_fmac_f32_e32 v113, 0xbf27a4f4, v75
	v_mul_f32_e32 v79, 0xbe903f40, v79
	v_add_f32_e32 v10, v28, v10
	v_fma_f32 v28, v72, s14, -v73
	v_add_f32_e32 v51, v113, v51
	v_mov_b32_e32 v113, v79
	v_add_f32_e32 v10, v28, v10
	v_fma_f32 v28, v75, s12, -v76
	v_fmac_f32_e32 v113, 0xbf75a155, v78
	v_add_f32_e32 v10, v28, v10
	v_fma_f32 v28, v78, s10, -v79
	v_add_f32_e32 v51, v113, v51
	v_add_f32_e32 v1, v38, v1
	;; [unrolled: 1-line block ×4, first 2 shown]
	v_lshlrev_b32_e32 v28, 3, v41
	ds_write2_b64 v28, v[0:1], v[51:52] offset1:1
	ds_write2_b64 v28, v[49:50], v[47:48] offset0:2 offset1:3
	ds_write2_b64 v28, v[45:46], v[43:44] offset0:4 offset1:5
	;; [unrolled: 1-line block ×4, first 2 shown]
	ds_write_b64 v28, v[10:11] offset:80
.LBB0_13:
	s_or_b64 exec, exec, s[4:5]
	s_waitcnt lgkmcnt(0)
	; wave barrier
	s_waitcnt lgkmcnt(0)
	ds_read2_b64 v[0:3], v39 offset1:55
	ds_read2_b64 v[4:7], v39 offset0:110 offset1:165
	ds_read_b64 v[8:9], v39 offset:1760
	s_waitcnt lgkmcnt(0)
	; wave barrier
	s_waitcnt lgkmcnt(0)
	v_mul_f32_e32 v10, v17, v3
	v_fmac_f32_e32 v10, v16, v2
	v_mul_f32_e32 v2, v17, v2
	v_fma_f32 v11, v16, v3, -v2
	v_mul_f32_e32 v16, v19, v5
	v_mul_f32_e32 v2, v19, v4
	v_fmac_f32_e32 v16, v18, v4
	v_fma_f32 v17, v18, v5, -v2
	v_mul_f32_e32 v18, v13, v7
	v_fmac_f32_e32 v18, v12, v6
	v_mul_f32_e32 v2, v13, v6
	v_fma_f32 v12, v12, v7, -v2
	v_mul_f32_e32 v2, v15, v8
	v_add_f32_e32 v3, v16, v18
	v_mul_f32_e32 v7, v15, v9
	v_fma_f32 v13, v14, v9, -v2
	v_fma_f32 v4, -0.5, v3, v0
	v_fmac_f32_e32 v7, v14, v8
	v_sub_f32_e32 v3, v11, v13
	v_mov_b32_e32 v6, v4
	v_fmac_f32_e32 v6, 0xbf737871, v3
	v_sub_f32_e32 v5, v17, v12
	v_sub_f32_e32 v8, v10, v16
	;; [unrolled: 1-line block ×3, first 2 shown]
	v_fmac_f32_e32 v4, 0x3f737871, v3
	v_fmac_f32_e32 v6, 0xbf167918, v5
	v_add_f32_e32 v8, v8, v9
	v_fmac_f32_e32 v4, 0x3f167918, v5
	v_fmac_f32_e32 v6, 0x3e9e377a, v8
	;; [unrolled: 1-line block ×3, first 2 shown]
	v_add_f32_e32 v8, v10, v7
	v_add_f32_e32 v2, v0, v10
	v_fma_f32 v0, -0.5, v8, v0
	v_mov_b32_e32 v8, v0
	v_add_f32_e32 v2, v2, v16
	v_fmac_f32_e32 v8, 0x3f737871, v5
	v_fmac_f32_e32 v0, 0xbf737871, v5
	v_add_f32_e32 v5, v17, v12
	v_add_f32_e32 v2, v2, v18
	v_sub_f32_e32 v9, v16, v10
	v_sub_f32_e32 v14, v18, v7
	v_fma_f32 v5, -0.5, v5, v1
	v_add_f32_e32 v2, v2, v7
	v_fmac_f32_e32 v8, 0xbf167918, v3
	v_add_f32_e32 v9, v9, v14
	v_fmac_f32_e32 v0, 0x3f167918, v3
	v_sub_f32_e32 v10, v10, v7
	v_mov_b32_e32 v7, v5
	v_fmac_f32_e32 v8, 0x3e9e377a, v9
	v_fmac_f32_e32 v0, 0x3e9e377a, v9
	;; [unrolled: 1-line block ×3, first 2 shown]
	v_sub_f32_e32 v14, v16, v18
	v_sub_f32_e32 v9, v11, v17
	v_sub_f32_e32 v15, v13, v12
	v_fmac_f32_e32 v5, 0xbf737871, v10
	v_fmac_f32_e32 v7, 0x3f167918, v14
	v_add_f32_e32 v9, v9, v15
	v_fmac_f32_e32 v5, 0xbf167918, v14
	v_fmac_f32_e32 v7, 0x3e9e377a, v9
	;; [unrolled: 1-line block ×3, first 2 shown]
	v_add_f32_e32 v9, v11, v13
	v_add_f32_e32 v3, v1, v11
	v_fma_f32 v1, -0.5, v9, v1
	v_add_f32_e32 v3, v3, v17
	v_mov_b32_e32 v9, v1
	v_add_f32_e32 v3, v3, v12
	v_fmac_f32_e32 v9, 0xbf737871, v14
	v_sub_f32_e32 v11, v17, v11
	v_sub_f32_e32 v12, v12, v13
	v_fmac_f32_e32 v1, 0x3f737871, v14
	v_fmac_f32_e32 v9, 0x3f167918, v10
	v_add_f32_e32 v11, v11, v12
	v_fmac_f32_e32 v1, 0xbf167918, v10
	v_add_f32_e32 v3, v3, v13
	v_fmac_f32_e32 v9, 0x3e9e377a, v11
	v_fmac_f32_e32 v1, 0x3e9e377a, v11
	ds_write2_b64 v42, v[2:3], v[6:7] offset1:11
	ds_write2_b64 v42, v[8:9], v[0:1] offset0:22 offset1:33
	ds_write_b64 v42, v[4:5] offset:352
	s_waitcnt lgkmcnt(0)
	; wave barrier
	s_waitcnt lgkmcnt(0)
	ds_read2_b64 v[0:3], v39 offset1:55
	ds_read2_b64 v[4:7], v39 offset0:110 offset1:165
	ds_read_b64 v[8:9], v39 offset:1760
	s_waitcnt lgkmcnt(2)
	v_mul_f32_e32 v10, v25, v3
	v_fmac_f32_e32 v10, v24, v2
	v_mul_f32_e32 v2, v25, v2
	v_fma_f32 v11, v24, v3, -v2
	s_waitcnt lgkmcnt(1)
	v_mul_f32_e32 v12, v27, v5
	v_mul_f32_e32 v2, v27, v4
	v_mul_f32_e32 v14, v21, v7
	v_fmac_f32_e32 v12, v26, v4
	v_fma_f32 v13, v26, v5, -v2
	v_fmac_f32_e32 v14, v20, v6
	v_mul_f32_e32 v2, v21, v6
	v_fma_f32 v15, v20, v7, -v2
	s_waitcnt lgkmcnt(0)
	v_mul_f32_e32 v2, v23, v8
	v_add_f32_e32 v3, v12, v14
	v_mul_f32_e32 v7, v23, v9
	v_fma_f32 v16, v22, v9, -v2
	v_fma_f32 v4, -0.5, v3, v0
	v_fmac_f32_e32 v7, v22, v8
	v_sub_f32_e32 v3, v11, v16
	v_mov_b32_e32 v6, v4
	v_fmac_f32_e32 v6, 0xbf737871, v3
	v_sub_f32_e32 v5, v13, v15
	v_sub_f32_e32 v8, v10, v12
	;; [unrolled: 1-line block ×3, first 2 shown]
	v_fmac_f32_e32 v4, 0x3f737871, v3
	v_fmac_f32_e32 v6, 0xbf167918, v5
	v_add_f32_e32 v8, v8, v9
	v_fmac_f32_e32 v4, 0x3f167918, v5
	v_fmac_f32_e32 v6, 0x3e9e377a, v8
	;; [unrolled: 1-line block ×3, first 2 shown]
	v_add_f32_e32 v8, v10, v7
	v_add_f32_e32 v2, v0, v10
	v_fma_f32 v0, -0.5, v8, v0
	v_mov_b32_e32 v8, v0
	v_add_f32_e32 v2, v2, v12
	v_fmac_f32_e32 v8, 0x3f737871, v5
	v_fmac_f32_e32 v0, 0xbf737871, v5
	v_add_f32_e32 v5, v13, v15
	v_add_f32_e32 v2, v2, v14
	v_sub_f32_e32 v9, v12, v10
	v_sub_f32_e32 v17, v14, v7
	v_fma_f32 v5, -0.5, v5, v1
	v_add_f32_e32 v2, v2, v7
	v_fmac_f32_e32 v8, 0xbf167918, v3
	v_add_f32_e32 v9, v9, v17
	v_fmac_f32_e32 v0, 0x3f167918, v3
	v_sub_f32_e32 v10, v10, v7
	v_mov_b32_e32 v7, v5
	v_fmac_f32_e32 v8, 0x3e9e377a, v9
	v_fmac_f32_e32 v0, 0x3e9e377a, v9
	;; [unrolled: 1-line block ×3, first 2 shown]
	v_sub_f32_e32 v12, v12, v14
	v_sub_f32_e32 v9, v11, v13
	v_sub_f32_e32 v14, v16, v15
	v_fmac_f32_e32 v5, 0xbf737871, v10
	v_fmac_f32_e32 v7, 0x3f167918, v12
	v_add_f32_e32 v9, v9, v14
	v_fmac_f32_e32 v5, 0xbf167918, v12
	v_fmac_f32_e32 v7, 0x3e9e377a, v9
	;; [unrolled: 1-line block ×3, first 2 shown]
	v_add_f32_e32 v9, v11, v16
	v_add_f32_e32 v3, v1, v11
	v_fma_f32 v1, -0.5, v9, v1
	v_add_f32_e32 v3, v3, v13
	v_mov_b32_e32 v9, v1
	v_add_f32_e32 v3, v3, v15
	v_fmac_f32_e32 v9, 0xbf737871, v12
	v_sub_f32_e32 v11, v13, v11
	v_sub_f32_e32 v13, v15, v16
	v_fmac_f32_e32 v1, 0x3f737871, v12
	v_add_f32_e32 v3, v3, v16
	v_fmac_f32_e32 v9, 0x3f167918, v10
	v_add_f32_e32 v11, v11, v13
	v_fmac_f32_e32 v1, 0xbf167918, v10
	v_fmac_f32_e32 v9, 0x3e9e377a, v11
	;; [unrolled: 1-line block ×3, first 2 shown]
	ds_write2_b64 v39, v[2:3], v[6:7] offset1:55
	ds_write2_b64 v39, v[8:9], v[0:1] offset0:110 offset1:165
	ds_write_b64 v39, v[4:5] offset:1760
	s_waitcnt lgkmcnt(0)
	; wave barrier
	s_waitcnt lgkmcnt(0)
	s_and_b64 exec, exec, vcc
	s_cbranch_execz .LBB0_15
; %bb.14:
	global_load_dwordx2 v[8:9], v39, s[6:7]
	global_load_dwordx2 v[10:11], v39, s[6:7] offset:200
	global_load_dwordx2 v[12:13], v39, s[6:7] offset:400
	;; [unrolled: 1-line block ×4, first 2 shown]
	ds_read_b64 v[18:19], v39
	ds_read2_b64 v[0:3], v39 offset0:25 offset1:50
	ds_read2_b64 v[4:7], v39 offset0:75 offset1:100
	global_load_dwordx2 v[24:25], v39, s[6:7] offset:1000
	global_load_dwordx2 v[26:27], v39, s[6:7] offset:1200
	v_mad_u64_u32 v[20:21], s[4:5], s2, v36, 0
	v_mad_u64_u32 v[22:23], s[10:11], s0, v40, 0
	v_mov_b32_e32 v31, s9
	s_mul_i32 s2, s1, 0xc8
	v_mad_u64_u32 v[28:29], s[10:11], s3, v36, v[21:22]
	s_mul_hi_u32 s9, s0, 0xc8
	s_mulk_i32 s0, 0xc8
	v_mov_b32_e32 v21, v28
	v_lshlrev_b64 v[20:21], 3, v[20:21]
	s_add_i32 s2, s9, s2
	v_add_co_u32_e32 v20, vcc, s8, v20
	v_addc_co_u32_e32 v21, vcc, v31, v21, vcc
	v_mov_b32_e32 v32, s2
	s_mov_b32 s4, 0xdca01dca
	s_mov_b32 s5, 0x3f6dca01
	s_waitcnt vmcnt(5) lgkmcnt(1)
	v_mul_f32_e32 v31, v1, v11
	v_mul_f32_e32 v11, v0, v11
	s_waitcnt vmcnt(3) lgkmcnt(0)
	v_mul_f32_e32 v33, v5, v15
	v_mul_f32_e32 v15, v4, v15
	s_waitcnt vmcnt(2)
	v_mul_f32_e32 v34, v7, v17
	v_mul_f32_e32 v17, v6, v17
	s_waitcnt vmcnt(1)
	v_mad_u64_u32 v[29:30], s[10:11], s1, v40, v[23:24]
	v_mov_b32_e32 v30, s2
	v_fmac_f32_e32 v31, v0, v10
	v_mov_b32_e32 v23, v29
	v_lshlrev_b64 v[22:23], 3, v[22:23]
	v_fma_f32 v10, v10, v1, -v11
	v_add_co_u32_e32 v20, vcc, v20, v22
	v_addc_co_u32_e32 v21, vcc, v21, v23, vcc
	v_add_co_u32_e32 v22, vcc, s0, v20
	v_addc_co_u32_e32 v23, vcc, v21, v30, vcc
	v_mul_f32_e32 v30, v19, v9
	v_mul_f32_e32 v9, v18, v9
	v_fmac_f32_e32 v30, v18, v8
	v_fma_f32 v18, v8, v19, -v9
	global_load_dwordx2 v[8:9], v39, s[6:7] offset:1400
	v_add_co_u32_e32 v28, vcc, s0, v22
	v_addc_co_u32_e32 v29, vcc, v23, v32, vcc
	v_mul_f32_e32 v32, v3, v13
	v_mul_f32_e32 v13, v2, v13
	v_fmac_f32_e32 v32, v2, v12
	v_fma_f32 v12, v12, v3, -v13
	v_cvt_f64_f32_e32 v[0:1], v30
	v_cvt_f64_f32_e32 v[2:3], v18
	v_fmac_f32_e32 v33, v4, v14
	v_fma_f32 v19, v14, v5, -v15
	v_fmac_f32_e32 v34, v6, v16
	v_fma_f32 v35, v16, v7, -v17
	v_cvt_f64_f32_e32 v[4:5], v31
	global_load_dwordx2 v[30:31], v39, s[6:7] offset:1600
	v_cvt_f64_f32_e32 v[6:7], v10
	v_cvt_f64_f32_e32 v[10:11], v32
	;; [unrolled: 1-line block ×3, first 2 shown]
	v_mul_f64 v[0:1], v[0:1], s[4:5]
	v_mul_f64 v[2:3], v[2:3], s[4:5]
	;; [unrolled: 1-line block ×6, first 2 shown]
	v_cvt_f64_f32_e32 v[16:17], v19
	v_cvt_f64_f32_e32 v[14:15], v33
	v_cvt_f32_f64_e32 v0, v[0:1]
	v_cvt_f32_f64_e32 v1, v[2:3]
	;; [unrolled: 1-line block ×6, first 2 shown]
	global_store_dwordx2 v[20:21], v[0:1], off
	global_store_dwordx2 v[22:23], v[2:3], off
	;; [unrolled: 1-line block ×3, first 2 shown]
	v_mul_f64 v[16:17], v[16:17], s[4:5]
	global_load_dwordx2 v[4:5], v39, s[6:7] offset:1800
	v_mul_f64 v[14:15], v[14:15], s[4:5]
	v_cvt_f64_f32_e32 v[0:1], v35
	v_cvt_f64_f32_e32 v[18:19], v34
	v_mul_f64 v[12:13], v[0:1], s[4:5]
	v_cvt_f32_f64_e32 v7, v[16:17]
	global_load_dwordx2 v[16:17], v39, s[6:7] offset:2000
	ds_read2_b64 v[0:3], v39 offset0:125 offset1:150
	v_cvt_f32_f64_e32 v6, v[14:15]
	v_mov_b32_e32 v15, s2
	v_add_co_u32_e32 v14, vcc, s0, v28
	v_addc_co_u32_e32 v15, vcc, v29, v15, vcc
	global_store_dwordx2 v[14:15], v[6:7], off
	s_waitcnt lgkmcnt(0)
	v_mul_f32_e32 v6, v1, v25
	v_fmac_f32_e32 v6, v0, v24
	v_cvt_f64_f32_e32 v[6:7], v6
	v_mul_f32_e32 v0, v0, v25
	v_fma_f32 v0, v24, v1, -v0
	v_mul_f64 v[10:11], v[18:19], s[4:5]
	v_mul_f64 v[6:7], v[6:7], s[4:5]
	v_cvt_f64_f32_e32 v[0:1], v0
	v_mov_b32_e32 v18, s2
	v_mul_f64 v[0:1], v[0:1], s[4:5]
	v_cvt_f32_f64_e32 v10, v[10:11]
	v_cvt_f32_f64_e32 v6, v[6:7]
	s_waitcnt vmcnt(8)
	v_mul_f32_e32 v7, v3, v27
	v_fmac_f32_e32 v7, v2, v26
	v_mul_f32_e32 v2, v2, v27
	v_fma_f32 v2, v26, v3, -v2
	v_cvt_f32_f64_e32 v11, v[12:13]
	v_cvt_f64_f32_e32 v[2:3], v2
	v_mov_b32_e32 v13, s2
	v_add_co_u32_e32 v12, vcc, s0, v14
	v_addc_co_u32_e32 v13, vcc, v15, v13, vcc
	global_store_dwordx2 v[12:13], v[10:11], off
	v_cvt_f64_f32_e32 v[10:11], v7
	v_cvt_f32_f64_e32 v7, v[0:1]
	v_mul_f64 v[14:15], v[2:3], s[4:5]
	ds_read2_b64 v[0:3], v39 offset0:175 offset1:200
	v_add_co_u32_e32 v12, vcc, s0, v12
	v_addc_co_u32_e32 v13, vcc, v13, v18, vcc
	global_store_dwordx2 v[12:13], v[6:7], off
	s_waitcnt vmcnt(9) lgkmcnt(0)
	v_mul_f32_e32 v6, v1, v9
	v_fmac_f32_e32 v6, v0, v8
	v_cvt_f64_f32_e32 v[6:7], v6
	v_mul_f64 v[10:11], v[10:11], s[4:5]
	v_mul_f32_e32 v0, v0, v9
	v_fma_f32 v0, v8, v1, -v0
	v_mul_f64 v[6:7], v[6:7], s[4:5]
	v_cvt_f64_f32_e32 v[0:1], v0
	v_add_co_u32_e32 v8, vcc, s0, v12
	v_cvt_f32_f64_e32 v10, v[10:11]
	v_cvt_f32_f64_e32 v11, v[14:15]
	v_mov_b32_e32 v14, s2
	v_mul_f64 v[0:1], v[0:1], s[4:5]
	v_cvt_f32_f64_e32 v6, v[6:7]
	s_waitcnt vmcnt(8)
	v_mul_f32_e32 v7, v3, v31
	v_addc_co_u32_e32 v9, vcc, v13, v14, vcc
	v_fmac_f32_e32 v7, v2, v30
	global_store_dwordx2 v[8:9], v[10:11], off
	v_cvt_f64_f32_e32 v[10:11], v7
	v_mul_f32_e32 v2, v2, v31
	v_fma_f32 v2, v30, v3, -v2
	v_cvt_f64_f32_e32 v[2:3], v2
	v_mul_f64 v[10:11], v[10:11], s[4:5]
	v_cvt_f32_f64_e32 v7, v[0:1]
	v_mov_b32_e32 v0, s2
	v_add_co_u32_e32 v8, vcc, s0, v8
	v_mul_f64 v[12:13], v[2:3], s[4:5]
	v_addc_co_u32_e32 v9, vcc, v9, v0, vcc
	ds_read2_b64 v[0:3], v39 offset0:225 offset1:250
	global_store_dwordx2 v[8:9], v[6:7], off
	v_cvt_f32_f64_e32 v6, v[10:11]
	s_waitcnt vmcnt(6) lgkmcnt(0)
	v_mul_f32_e32 v10, v1, v5
	v_fmac_f32_e32 v10, v0, v4
	v_mul_f32_e32 v0, v0, v5
	v_fma_f32 v0, v4, v1, -v0
	v_cvt_f32_f64_e32 v7, v[12:13]
	v_cvt_f64_f32_e32 v[10:11], v10
	v_cvt_f64_f32_e32 v[0:1], v0
	v_mov_b32_e32 v12, s2
	v_add_co_u32_e32 v4, vcc, s0, v8
	v_addc_co_u32_e32 v5, vcc, v9, v12, vcc
	global_store_dwordx2 v[4:5], v[6:7], off
	v_mul_f64 v[6:7], v[10:11], s[4:5]
	v_mul_f64 v[0:1], v[0:1], s[4:5]
	s_waitcnt vmcnt(6)
	v_mul_f32_e32 v8, v3, v17
	v_fmac_f32_e32 v8, v2, v16
	v_mul_f32_e32 v2, v2, v17
	v_fma_f32 v2, v16, v3, -v2
	v_cvt_f64_f32_e32 v[8:9], v8
	v_cvt_f64_f32_e32 v[2:3], v2
	v_cvt_f32_f64_e32 v6, v[6:7]
	v_cvt_f32_f64_e32 v7, v[0:1]
	v_mul_f64 v[0:1], v[8:9], s[4:5]
	v_mul_f64 v[2:3], v[2:3], s[4:5]
	v_mov_b32_e32 v8, s2
	v_add_co_u32_e32 v4, vcc, s0, v4
	v_addc_co_u32_e32 v5, vcc, v5, v8, vcc
	global_store_dwordx2 v[4:5], v[6:7], off
	v_cvt_f32_f64_e32 v0, v[0:1]
	v_cvt_f32_f64_e32 v1, v[2:3]
	v_mov_b32_e32 v3, s2
	v_add_co_u32_e32 v2, vcc, s0, v4
	v_addc_co_u32_e32 v3, vcc, v5, v3, vcc
	global_store_dwordx2 v[2:3], v[0:1], off
.LBB0_15:
	s_endpgm
	.section	.rodata,"a",@progbits
	.p2align	6, 0x0
	.amdhsa_kernel bluestein_single_back_len275_dim1_sp_op_CI_CI
		.amdhsa_group_segment_fixed_size 2200
		.amdhsa_private_segment_fixed_size 0
		.amdhsa_kernarg_size 104
		.amdhsa_user_sgpr_count 6
		.amdhsa_user_sgpr_private_segment_buffer 1
		.amdhsa_user_sgpr_dispatch_ptr 0
		.amdhsa_user_sgpr_queue_ptr 0
		.amdhsa_user_sgpr_kernarg_segment_ptr 1
		.amdhsa_user_sgpr_dispatch_id 0
		.amdhsa_user_sgpr_flat_scratch_init 0
		.amdhsa_user_sgpr_private_segment_size 0
		.amdhsa_uses_dynamic_stack 0
		.amdhsa_system_sgpr_private_segment_wavefront_offset 0
		.amdhsa_system_sgpr_workgroup_id_x 1
		.amdhsa_system_sgpr_workgroup_id_y 0
		.amdhsa_system_sgpr_workgroup_id_z 0
		.amdhsa_system_sgpr_workgroup_info 0
		.amdhsa_system_vgpr_workitem_id 0
		.amdhsa_next_free_vgpr 118
		.amdhsa_next_free_sgpr 16
		.amdhsa_reserve_vcc 1
		.amdhsa_reserve_flat_scratch 0
		.amdhsa_float_round_mode_32 0
		.amdhsa_float_round_mode_16_64 0
		.amdhsa_float_denorm_mode_32 3
		.amdhsa_float_denorm_mode_16_64 3
		.amdhsa_dx10_clamp 1
		.amdhsa_ieee_mode 1
		.amdhsa_fp16_overflow 0
		.amdhsa_exception_fp_ieee_invalid_op 0
		.amdhsa_exception_fp_denorm_src 0
		.amdhsa_exception_fp_ieee_div_zero 0
		.amdhsa_exception_fp_ieee_overflow 0
		.amdhsa_exception_fp_ieee_underflow 0
		.amdhsa_exception_fp_ieee_inexact 0
		.amdhsa_exception_int_div_zero 0
	.end_amdhsa_kernel
	.text
.Lfunc_end0:
	.size	bluestein_single_back_len275_dim1_sp_op_CI_CI, .Lfunc_end0-bluestein_single_back_len275_dim1_sp_op_CI_CI
                                        ; -- End function
	.section	.AMDGPU.csdata,"",@progbits
; Kernel info:
; codeLenInByte = 8988
; NumSgprs: 20
; NumVgprs: 118
; ScratchSize: 0
; MemoryBound: 0
; FloatMode: 240
; IeeeMode: 1
; LDSByteSize: 2200 bytes/workgroup (compile time only)
; SGPRBlocks: 2
; VGPRBlocks: 29
; NumSGPRsForWavesPerEU: 20
; NumVGPRsForWavesPerEU: 118
; Occupancy: 2
; WaveLimiterHint : 1
; COMPUTE_PGM_RSRC2:SCRATCH_EN: 0
; COMPUTE_PGM_RSRC2:USER_SGPR: 6
; COMPUTE_PGM_RSRC2:TRAP_HANDLER: 0
; COMPUTE_PGM_RSRC2:TGID_X_EN: 1
; COMPUTE_PGM_RSRC2:TGID_Y_EN: 0
; COMPUTE_PGM_RSRC2:TGID_Z_EN: 0
; COMPUTE_PGM_RSRC2:TIDIG_COMP_CNT: 0
	.type	__hip_cuid_31028e615533bf2f,@object ; @__hip_cuid_31028e615533bf2f
	.section	.bss,"aw",@nobits
	.globl	__hip_cuid_31028e615533bf2f
__hip_cuid_31028e615533bf2f:
	.byte	0                               ; 0x0
	.size	__hip_cuid_31028e615533bf2f, 1

	.ident	"AMD clang version 19.0.0git (https://github.com/RadeonOpenCompute/llvm-project roc-6.4.0 25133 c7fe45cf4b819c5991fe208aaa96edf142730f1d)"
	.section	".note.GNU-stack","",@progbits
	.addrsig
	.addrsig_sym __hip_cuid_31028e615533bf2f
	.amdgpu_metadata
---
amdhsa.kernels:
  - .args:
      - .actual_access:  read_only
        .address_space:  global
        .offset:         0
        .size:           8
        .value_kind:     global_buffer
      - .actual_access:  read_only
        .address_space:  global
        .offset:         8
        .size:           8
        .value_kind:     global_buffer
      - .actual_access:  read_only
        .address_space:  global
        .offset:         16
        .size:           8
        .value_kind:     global_buffer
      - .actual_access:  read_only
        .address_space:  global
        .offset:         24
        .size:           8
        .value_kind:     global_buffer
      - .actual_access:  read_only
        .address_space:  global
        .offset:         32
        .size:           8
        .value_kind:     global_buffer
      - .offset:         40
        .size:           8
        .value_kind:     by_value
      - .address_space:  global
        .offset:         48
        .size:           8
        .value_kind:     global_buffer
      - .address_space:  global
        .offset:         56
        .size:           8
        .value_kind:     global_buffer
      - .address_space:  global
        .offset:         64
        .size:           8
        .value_kind:     global_buffer
      - .address_space:  global
        .offset:         72
        .size:           8
        .value_kind:     global_buffer
      - .offset:         80
        .size:           4
        .value_kind:     by_value
      - .address_space:  global
        .offset:         88
        .size:           8
        .value_kind:     global_buffer
      - .address_space:  global
        .offset:         96
        .size:           8
        .value_kind:     global_buffer
    .group_segment_fixed_size: 2200
    .kernarg_segment_align: 8
    .kernarg_segment_size: 104
    .language:       OpenCL C
    .language_version:
      - 2
      - 0
    .max_flat_workgroup_size: 55
    .name:           bluestein_single_back_len275_dim1_sp_op_CI_CI
    .private_segment_fixed_size: 0
    .sgpr_count:     20
    .sgpr_spill_count: 0
    .symbol:         bluestein_single_back_len275_dim1_sp_op_CI_CI.kd
    .uniform_work_group_size: 1
    .uses_dynamic_stack: false
    .vgpr_count:     118
    .vgpr_spill_count: 0
    .wavefront_size: 64
amdhsa.target:   amdgcn-amd-amdhsa--gfx906
amdhsa.version:
  - 1
  - 2
...

	.end_amdgpu_metadata
